;; amdgpu-corpus repo=ROCm/rocFFT kind=compiled arch=gfx950 opt=O3
	.text
	.amdgcn_target "amdgcn-amd-amdhsa--gfx950"
	.amdhsa_code_object_version 6
	.protected	fft_rtc_fwd_len100_factors_5_5_4_wgs_100_tpt_25_sp_op_CI_CI_sbrc_xy_z_unaligned_dirReg ; -- Begin function fft_rtc_fwd_len100_factors_5_5_4_wgs_100_tpt_25_sp_op_CI_CI_sbrc_xy_z_unaligned_dirReg
	.globl	fft_rtc_fwd_len100_factors_5_5_4_wgs_100_tpt_25_sp_op_CI_CI_sbrc_xy_z_unaligned_dirReg
	.p2align	8
	.type	fft_rtc_fwd_len100_factors_5_5_4_wgs_100_tpt_25_sp_op_CI_CI_sbrc_xy_z_unaligned_dirReg,@function
fft_rtc_fwd_len100_factors_5_5_4_wgs_100_tpt_25_sp_op_CI_CI_sbrc_xy_z_unaligned_dirReg: ; @fft_rtc_fwd_len100_factors_5_5_4_wgs_100_tpt_25_sp_op_CI_CI_sbrc_xy_z_unaligned_dirReg
; %bb.0:
	s_load_dwordx4 s[4:7], s[0:1], 0x10
	s_load_dwordx2 s[20:21], s[0:1], 0x20
	s_waitcnt lgkmcnt(0)
	s_load_dwordx4 s[8:11], s[4:5], 0x8
	s_mov_b64 s[4:5], 0
	s_load_dwordx4 s[16:19], s[6:7], 0x0
	s_load_dwordx2 s[24:25], s[6:7], 0x10
	s_waitcnt lgkmcnt(0)
	s_add_i32 s3, s10, -1
	s_lshr_b32 s3, s3, 2
	s_add_i32 s3, s3, 1
	s_mul_i32 s12, s3, s8
	v_cvt_f32_u32_e32 v1, s12
	s_sub_i32 s5, 0, s12
	s_mov_b32 s3, 0
	s_mov_b32 s13, s3
	v_rcp_iflag_f32_e32 v1, v1
	v_mov_b64_e32 v[2:3], s[8:9]
	v_mul_f32_e32 v1, 0x4f7ffffe, v1
	v_cvt_u32_f32_e32 v1, v1
	s_nop 0
	v_readfirstlane_b32 s11, v1
	s_mul_i32 s5, s5, s11
	s_mul_hi_u32 s5, s11, s5
	s_add_i32 s11, s11, s5
	s_mul_hi_u32 s5, s2, s11
	s_mul_i32 s11, s5, s12
	s_sub_i32 s11, s2, s11
	s_add_i32 s14, s5, 1
	s_sub_i32 s15, s11, s12
	s_cmp_ge_u32 s11, s12
	s_cselect_b32 s5, s14, s5
	s_cselect_b32 s11, s15, s11
	s_add_i32 s14, s5, 1
	s_cmp_ge_u32 s11, s12
	s_cselect_b32 s11, s14, s5
	s_mul_i32 s5, s11, s12
	v_cvt_f32_u32_e32 v1, s8
	s_sub_i32 s12, s2, s5
	v_cmp_lt_u64_e32 vcc, s[12:13], v[2:3]
	s_cbranch_vccnz .LBB0_2
; %bb.1:
	v_rcp_iflag_f32_e32 v2, v1
	s_sub_i32 s4, 0, s8
	v_mul_f32_e32 v2, 0x4f7ffffe, v2
	v_cvt_u32_f32_e32 v2, v2
	s_nop 0
	v_readfirstlane_b32 s5, v2
	s_mul_i32 s4, s4, s5
	s_mul_hi_u32 s4, s5, s4
	s_add_i32 s5, s5, s4
	s_mul_hi_u32 s4, s12, s5
	s_mul_i32 s13, s4, s8
	s_sub_i32 s12, s12, s13
	s_add_i32 s5, s4, 1
	s_sub_i32 s13, s12, s8
	s_cmp_ge_u32 s12, s8
	s_cselect_b32 s4, s5, s4
	s_cselect_b32 s12, s13, s12
	s_add_i32 s5, s4, 1
	s_cmp_ge_u32 s12, s8
	s_cselect_b32 s4, s5, s4
.LBB0_2:
	s_load_dwordx2 s[26:27], s[0:1], 0x58
	v_mov_b64_e32 v[2:3], s[8:9]
	v_cmp_lt_u64_e32 vcc, s[2:3], v[2:3]
	s_cbranch_vccnz .LBB0_4
; %bb.3:
	v_rcp_iflag_f32_e32 v1, v1
	s_sub_i32 s3, 0, s8
	v_mul_f32_e32 v1, 0x4f7ffffe, v1
	v_cvt_u32_f32_e32 v1, v1
	s_nop 0
	v_readfirstlane_b32 s5, v1
	s_mul_i32 s3, s3, s5
	s_mul_hi_u32 s3, s5, s3
	s_add_i32 s5, s5, s3
	s_mul_hi_u32 s3, s2, s5
	s_mul_i32 s3, s3, s8
	s_sub_i32 s2, s2, s3
	s_sub_i32 s3, s2, s8
	s_cmp_ge_u32 s2, s8
	s_cselect_b32 s2, s3, s2
	s_sub_i32 s3, s2, s8
	s_cmp_ge_u32 s2, s8
	s_cselect_b32 s2, s3, s2
.LBB0_4:
	s_load_dwordx2 s[8:9], s[0:1], 0x8
	s_lshl_b32 s3, s4, 2
	s_mul_i32 s5, s2, s18
	s_mul_i32 s4, s3, s24
	s_add_i32 s22, s5, s4
	s_waitcnt lgkmcnt(0)
	s_lshl_b64 s[4:5], s[8:9], 3
	s_add_u32 s6, s6, s4
	s_addc_u32 s7, s7, s5
	s_load_dwordx2 s[8:9], s[6:7], 0x0
	s_load_dwordx4 s[12:15], s[20:21], 0x0
	s_load_dwordx2 s[18:19], s[20:21], 0x10
	v_mul_u32_u24_e32 v1, 0x290, v0
	v_lshrrev_b32_e32 v2, 16, v1
	s_waitcnt lgkmcnt(0)
	s_mul_i32 s6, s9, s11
	s_mul_hi_u32 s7, s8, s11
	s_mul_i32 s8, s8, s11
	s_add_i32 s7, s7, s6
	s_add_u32 s28, s8, s22
	s_addc_u32 s29, s7, 0
	s_add_u32 s4, s20, s4
	s_addc_u32 s5, s21, s5
	s_load_dwordx2 s[20:21], s[4:5], 0x0
	s_add_i32 s4, s3, 4
	s_cmp_le_u32 s4, s10
	s_cselect_b64 s[22:23], -1, 0
	v_mul_lo_u16_e32 v1, 0x64, v2
	v_sub_u16_e32 v12, v0, v1
	s_mov_b64 s[4:5], -1
	s_and_b64 vcc, exec, s[22:23]
	s_cbranch_vccnz .LBB0_16
; %bb.5:
	v_add_u32_e32 v3, s3, v2
	v_cmp_gt_u32_e32 vcc, s10, v3
	s_and_saveexec_b64 s[30:31], vcc
	s_cbranch_execz .LBB0_15
; %bb.6:
	v_mad_u64_u32 v[4:5], s[4:5], s16, v12, 0
	v_mov_b32_e32 v6, v5
	v_mad_u64_u32 v[6:7], s[4:5], s17, v12, v[6:7]
	s_lshl_b64 s[4:5], s[28:29], 3
	s_add_u32 s4, s26, s4
	v_mov_b32_e32 v5, v6
	s_addc_u32 s5, s27, s5
	v_sub_u32_e32 v10, s10, v3
	v_lshl_add_u64 v[4:5], v[4:5], 3, s[4:5]
	v_lshlrev_b32_e32 v9, 5, v12
	v_cmp_gt_u32_e32 vcc, 42, v10
	v_cmp_lt_u32_e64 s[4:5], 41, v10
	v_mov_b32_e32 v8, 0
	s_and_saveexec_b64 s[34:35], s[4:5]
	s_cbranch_execz .LBB0_12
; %bb.7:
	v_not_b32_e32 v1, v2
	v_add_u32_e32 v11, 0, v9
	v_add_u32_e32 v6, s10, v1
	v_subrev_u32_e32 v6, s3, v6
	v_lshl_add_u32 v7, v2, 3, v11
	v_lshl_add_u32 v8, v6, 3, v7
	v_cmp_ge_u32_e64 s[4:5], v8, v7
	v_add_u32_e32 v7, 4, v7
	v_add_u32_e32 v8, 4, v8
	v_cmp_ge_u32_e64 s[8:9], v8, v7
	s_brev_b32 s6, 4
	s_and_b64 s[8:9], s[8:9], s[4:5]
	v_cmp_gt_u32_e64 s[6:7], s6, v6
	s_cmp_eq_u64 s[24:25], 1
	s_cselect_b64 s[36:37], -1, 0
	s_and_b64 s[6:7], s[8:9], s[6:7]
	v_cmp_le_u32_e64 s[4:5], v6, v1
	s_and_b64 s[6:7], s[6:7], s[36:37]
	s_mov_b32 s15, 0
	s_and_b64 s[8:9], s[6:7], s[4:5]
	s_mov_b64 s[4:5], -1
	v_mov_b32_e32 v8, 0
	s_and_saveexec_b64 s[6:7], s[8:9]
	s_cbranch_execz .LBB0_11
; %bb.8:
	v_and_b32_e32 v8, -2, v10
	v_mov_b32_e32 v1, v2
	s_mov_b32 s19, s24
	s_mov_b32 s25, 1
	s_mov_b64 s[8:9], 0
	v_mov_b32_e32 v7, 0
	v_mov_b32_e32 v13, v8
.LBB0_9:                                ; =>This Inner Loop Header: Depth=1
	v_add_u32_e32 v22, s15, v2
	v_add_u32_e32 v23, s25, v1
	v_mul_lo_u32 v6, v22, s24
	v_mov_b32_e32 v15, v7
	v_mul_lo_u32 v14, v23, s19
	v_lshl_add_u64 v[16:17], v[6:7], 3, v[4:5]
	v_lshl_add_u64 v[14:15], v[14:15], 3, v[4:5]
	global_load_dwordx2 v[18:19], v[16:17], off
	global_load_dwordx2 v[20:21], v[14:15], off
	v_add_u32_e32 v13, -2, v13
	s_add_i32 s15, s15, 2
	s_add_i32 s25, s25, 2
	v_cmp_eq_u32_e64 s[4:5], 0, v13
	v_lshl_add_u32 v6, v22, 3, v11
	s_or_b64 s[8:9], s[4:5], s[8:9]
	v_lshl_add_u32 v14, v23, 3, v11
	s_waitcnt vmcnt(1)
	ds_write_b64 v6, v[18:19]
	s_waitcnt vmcnt(0)
	ds_write_b64 v14, v[20:21]
	s_andn2_b64 exec, exec, s[8:9]
	s_cbranch_execnz .LBB0_9
; %bb.10:
	s_or_b64 exec, exec, s[8:9]
	v_cmp_ne_u32_e64 s[4:5], v10, v8
	s_orn2_b64 s[4:5], s[4:5], exec
.LBB0_11:
	s_or_b64 exec, exec, s[6:7]
	s_andn2_b64 s[6:7], vcc, exec
	s_and_b64 s[4:5], s[4:5], exec
	s_or_b64 vcc, s[6:7], s[4:5]
.LBB0_12:
	s_or_b64 exec, exec, s[34:35]
	s_and_b64 exec, exec, vcc
	s_cbranch_execz .LBB0_15
; %bb.13:
	v_add_u32_e32 v6, v8, v2
	v_lshlrev_b32_e32 v1, 3, v6
	v_add3_u32 v1, v9, v1, 0
	v_mul_lo_u32 v6, v6, s24
	s_mov_b64 s[4:5], 0
	v_mov_b32_e32 v7, 0
.LBB0_14:                               ; =>This Inner Loop Header: Depth=1
	v_lshl_add_u64 v[10:11], v[6:7], 3, v[4:5]
	global_load_dwordx2 v[10:11], v[10:11], off
	v_add_u32_e32 v8, 1, v8
	v_add_u32_e32 v9, v3, v8
	v_cmp_le_u32_e32 vcc, s10, v9
	v_add_u32_e32 v6, s24, v6
	s_or_b64 s[4:5], vcc, s[4:5]
	s_waitcnt vmcnt(0)
	ds_write_b64 v1, v[10:11]
	v_add_u32_e32 v1, 8, v1
	s_andn2_b64 exec, exec, s[4:5]
	s_cbranch_execnz .LBB0_14
.LBB0_15:
	s_or_b64 exec, exec, s[30:31]
	s_mov_b64 s[4:5], 0
.LBB0_16:
	s_andn2_b64 vcc, exec, s[4:5]
	s_cbranch_vccnz .LBB0_18
; %bb.17:
	v_mad_u64_u32 v[4:5], s[4:5], s16, v12, 0
	v_mov_b32_e32 v6, v5
	v_mad_u64_u32 v[6:7], s[4:5], s17, v12, v[6:7]
	s_lshl_b64 s[4:5], s[28:29], 3
	s_add_u32 s4, s26, s4
	v_mov_b32_e32 v5, v6
	s_addc_u32 s5, s27, s5
	v_mul_lo_u32 v6, s24, v2
	v_mov_b32_e32 v7, 0
	v_lshl_add_u64 v[4:5], v[4:5], 3, s[4:5]
	v_lshl_add_u64 v[8:9], v[6:7], 3, v[4:5]
	v_add_u32_e32 v6, s24, v6
	v_lshl_add_u64 v[10:11], v[6:7], 3, v[4:5]
	v_add_u32_e32 v6, s24, v6
	;; [unrolled: 2-line block ×3, first 2 shown]
	v_lshl_add_u64 v[4:5], v[6:7], 3, v[4:5]
	global_load_dwordx2 v[6:7], v[8:9], off
	global_load_dwordx2 v[16:17], v[10:11], off
	;; [unrolled: 1-line block ×4, first 2 shown]
	v_lshlrev_b32_e32 v1, 5, v12
	v_lshlrev_b32_e32 v2, 3, v2
	v_add3_u32 v1, 0, v1, v2
	s_waitcnt vmcnt(2)
	ds_write2_b64 v1, v[6:7], v[16:17] offset1:1
	s_waitcnt vmcnt(0)
	ds_write2_b64 v1, v[18:19], v[20:21] offset0:2 offset1:3
.LBB0_18:
	v_lshrrev_b32_e32 v14, 2, v0
	v_and_b32_e32 v1, 3, v0
	v_lshl_add_u32 v16, v14, 5, 0
	v_lshl_add_u32 v13, v1, 3, v16
	s_waitcnt lgkmcnt(0)
	s_barrier
	ds_read2_b64 v[4:7], v13 offset1:80
	ds_read2_b64 v[18:21], v13 offset0:160 offset1:240
	ds_read_b64 v[22:23], v13 offset:2560
	s_mov_b32 s4, 0x3f737871
	s_mov_b32 s6, 0x3f167918
	s_waitcnt lgkmcnt(2)
	v_pk_add_f32 v[2:3], v[4:5], v[6:7]
	s_waitcnt lgkmcnt(1)
	v_pk_add_f32 v[28:29], v[18:19], v[20:21] neg_lo:[0,1] neg_hi:[0,1]
	v_pk_add_f32 v[2:3], v[2:3], v[18:19]
	s_waitcnt lgkmcnt(0)
	v_pk_add_f32 v[24:25], v[6:7], v[22:23] neg_lo:[0,1] neg_hi:[0,1]
	v_pk_add_f32 v[2:3], v[2:3], v[20:21]
	v_pk_mul_f32 v[8:9], v[24:25], s[4:5] op_sel_hi:[1,0]
	v_pk_add_f32 v[10:11], v[2:3], v[22:23]
	v_pk_add_f32 v[2:3], v[18:19], v[20:21]
	v_pk_add_f32 v[32:33], v[22:23], v[20:21] neg_lo:[0,1] neg_hi:[0,1]
	v_pk_fma_f32 v[2:3], v[2:3], 0.5, v[4:5] op_sel_hi:[1,0,1] neg_lo:[1,0,0] neg_hi:[1,0,0]
	s_mov_b32 s8, 0x3e9e377a
	v_pk_add_f32 v[26:27], v[2:3], v[8:9] op_sel:[0,1] op_sel_hi:[1,0]
	v_pk_add_f32 v[2:3], v[2:3], v[8:9] op_sel:[0,1] op_sel_hi:[1,0] neg_lo:[0,1] neg_hi:[0,1]
	v_pk_mul_f32 v[8:9], v[28:29], s[6:7] op_sel_hi:[1,0]
	v_pk_mul_f32 v[24:25], v[24:25], s[6:7] op_sel_hi:[1,0]
	v_pk_add_f32 v[30:31], v[2:3], v[8:9] op_sel:[0,1] op_sel_hi:[1,0] neg_lo:[0,1] neg_hi:[0,1]
	v_pk_add_f32 v[8:9], v[26:27], v[8:9] op_sel:[0,1] op_sel_hi:[1,0]
	v_pk_add_f32 v[26:27], v[6:7], v[18:19] neg_lo:[0,1] neg_hi:[0,1]
	v_mov_b32_e32 v2, v8
	v_mov_b32_e32 v3, v31
	v_pk_add_f32 v[26:27], v[26:27], v[32:33]
	v_mov_b32_e32 v31, v9
	v_pk_fma_f32 v[2:3], v[26:27], s[8:9], v[2:3] op_sel_hi:[1,0,1]
	v_pk_fma_f32 v[8:9], v[26:27], s[8:9], v[30:31] op_sel_hi:[1,0,1]
	v_pk_add_f32 v[26:27], v[6:7], v[22:23]
	v_pk_add_f32 v[6:7], v[18:19], v[6:7] neg_lo:[0,1] neg_hi:[0,1]
	v_pk_fma_f32 v[4:5], v[26:27], 0.5, v[4:5] op_sel_hi:[1,0,1] neg_lo:[1,0,0] neg_hi:[1,0,0]
	v_pk_mul_f32 v[26:27], v[28:29], s[4:5] op_sel_hi:[1,0]
	v_pk_add_f32 v[18:19], v[20:21], v[22:23] neg_lo:[0,1] neg_hi:[0,1]
	v_pk_add_f32 v[28:29], v[4:5], v[26:27] op_sel:[0,1] op_sel_hi:[1,0] neg_lo:[0,1] neg_hi:[0,1]
	v_pk_add_f32 v[4:5], v[4:5], v[26:27] op_sel:[0,1] op_sel_hi:[1,0]
	v_pk_add_f32 v[6:7], v[6:7], v[18:19]
	v_pk_add_f32 v[26:27], v[4:5], v[24:25] op_sel:[0,1] op_sel_hi:[1,0] neg_lo:[0,1] neg_hi:[0,1]
	v_pk_add_f32 v[24:25], v[28:29], v[24:25] op_sel:[0,1] op_sel_hi:[1,0]
	v_mov_b32_e32 v5, v27
	v_mov_b32_e32 v4, v24
	;; [unrolled: 1-line block ×3, first 2 shown]
	s_movk_i32 s4, 0x50
	v_pk_fma_f32 v[4:5], v[6:7], s[8:9], v[4:5] op_sel_hi:[1,0,1]
	v_pk_fma_f32 v[6:7], v[6:7], s[8:9], v[26:27] op_sel_hi:[1,0,1]
	v_cmp_gt_u32_e32 vcc, s4, v0
	v_lshlrev_b32_e32 v15, 3, v1
	s_barrier
	s_and_saveexec_b64 s[4:5], vcc
	s_cbranch_execz .LBB0_20
; %bb.19:
	v_lshlrev_b32_e32 v17, 7, v14
	v_add3_u32 v16, v16, v17, v15
	ds_write2_b64 v16, v[10:11], v[2:3] offset1:4
	ds_write2_b64 v16, v[4:5], v[6:7] offset0:8 offset1:12
	ds_write_b64 v16, v[8:9] offset:128
.LBB0_20:
	s_or_b64 exec, exec, s[4:5]
	s_load_dwordx2 s[4:5], s[0:1], 0x0
	s_waitcnt lgkmcnt(0)
	s_barrier
	s_and_saveexec_b64 s[6:7], vcc
	s_cbranch_execz .LBB0_22
; %bb.21:
	v_add_u32_e32 v6, 0x400, v13
	ds_read2_b32 v[10:11], v13 offset1:1
	ds_read2_b64 v[2:5], v13 offset0:80 offset1:160
	ds_read2_b64 v[6:9], v6 offset0:112 offset1:192
.LBB0_22:
	s_or_b64 exec, exec, s[6:7]
	s_waitcnt lgkmcnt(0)
	s_barrier
	s_and_saveexec_b64 s[6:7], vcc
	s_cbranch_execz .LBB0_24
; %bb.23:
	s_mov_b32 s8, 0x33333334
	v_mul_hi_u32 v16, v14, s8
	v_mul_u32_u24_e32 v16, 5, v16
	v_sub_u32_e32 v25, v14, v16
	v_lshlrev_b32_e32 v24, 5, v25
	global_load_dwordx4 v[16:19], v24, s[4:5]
	global_load_dwordx4 v[20:23], v24, s[4:5] offset:16
	v_mov_b32_e32 v26, v3
	v_lshrrev_b16_e32 v3, 2, v0
	v_mov_b32_e32 v24, v5
	v_mov_b32_e32 v5, 25
	v_mul_lo_u16_e32 v3, 52, v3
	v_mov_b32_e32 v28, v7
	v_mov_b32_e32 v30, v9
	v_mul_lo_u16_sdwa v3, v3, v5 dst_sel:DWORD dst_unused:UNUSED_PAD src0_sel:BYTE_1 src1_sel:DWORD
	v_add_lshl_u32 v3, v25, v3, 5
	v_add3_u32 v15, 0, v3, v15
	s_mov_b32 s16, 0x3f737871
	s_mov_b32 s24, 0x3f167918
	;; [unrolled: 1-line block ×3, first 2 shown]
	s_waitcnt vmcnt(1)
	v_pk_mul_f32 v[24:25], v[24:25], v[18:19] op_sel_hi:[0,1]
	v_pk_mul_f32 v[26:27], v[26:27], v[16:17] op_sel_hi:[0,1]
	s_waitcnt vmcnt(0)
	v_pk_mul_f32 v[28:29], v[28:29], v[20:21] op_sel_hi:[0,1]
	v_pk_mul_f32 v[30:31], v[30:31], v[22:23] op_sel_hi:[0,1]
	v_pk_fma_f32 v[32:33], v[4:5], v[18:19], v[24:25] op_sel:[0,0,1] op_sel_hi:[1,1,0] neg_lo:[0,0,1] neg_hi:[0,0,1]
	v_pk_fma_f32 v[4:5], v[4:5], v[18:19], v[24:25] op_sel:[0,0,1] op_sel_hi:[0,1,0]
	v_pk_fma_f32 v[18:19], v[2:3], v[16:17], v[26:27] op_sel:[0,0,1] op_sel_hi:[1,1,0] neg_lo:[0,0,1] neg_hi:[0,0,1]
	v_pk_fma_f32 v[2:3], v[2:3], v[16:17], v[26:27] op_sel:[0,0,1] op_sel_hi:[0,1,0]
	;; [unrolled: 2-line block ×4, first 2 shown]
	v_mov_b32_e32 v33, v5
	v_mov_b32_e32 v19, v3
	v_mov_b32_e32 v17, v7
	v_mov_b32_e32 v21, v9
	v_pk_add_f32 v[2:3], v[10:11], v[18:19]
	v_pk_add_f32 v[6:7], v[18:19], v[20:21] neg_lo:[0,1] neg_hi:[0,1]
	v_pk_add_f32 v[8:9], v[18:19], v[32:33] neg_lo:[0,1] neg_hi:[0,1]
	;; [unrolled: 1-line block ×3, first 2 shown]
	v_pk_add_f32 v[24:25], v[32:33], v[16:17]
	v_pk_add_f32 v[4:5], v[32:33], v[16:17] neg_lo:[0,1] neg_hi:[0,1]
	v_pk_add_f32 v[26:27], v[32:33], v[18:19] neg_lo:[0,1] neg_hi:[0,1]
	v_pk_add_f32 v[18:19], v[18:19], v[20:21]
	v_pk_add_f32 v[2:3], v[2:3], v[32:33]
	v_pk_add_f32 v[8:9], v[8:9], v[22:23]
	v_pk_fma_f32 v[22:23], v[24:25], 0.5, v[10:11] op_sel_hi:[1,0,1] neg_lo:[1,0,0] neg_hi:[1,0,0]
	v_pk_mul_f32 v[24:25], v[6:7], s[16:17] op_sel_hi:[1,0]
	v_pk_add_f32 v[28:29], v[16:17], v[20:21] neg_lo:[0,1] neg_hi:[0,1]
	v_pk_mul_f32 v[30:31], v[4:5], s[24:25] op_sel_hi:[1,0]
	v_pk_fma_f32 v[10:11], v[18:19], 0.5, v[10:11] op_sel_hi:[1,0,1] neg_lo:[1,0,0] neg_hi:[1,0,0]
	v_pk_mul_f32 v[4:5], v[4:5], s[16:17] op_sel_hi:[1,0]
	v_pk_add_f32 v[2:3], v[2:3], v[16:17]
	v_pk_add_f32 v[16:17], v[22:23], v[24:25] op_sel:[0,1] op_sel_hi:[1,0]
	v_pk_add_f32 v[18:19], v[22:23], v[24:25] op_sel:[0,1] op_sel_hi:[1,0] neg_lo:[0,1] neg_hi:[0,1]
	v_pk_mul_f32 v[6:7], v[6:7], s[24:25] op_sel_hi:[1,0]
	v_pk_add_f32 v[22:23], v[10:11], v[4:5] op_sel:[0,1] op_sel_hi:[1,0] neg_lo:[0,1] neg_hi:[0,1]
	v_pk_add_f32 v[4:5], v[10:11], v[4:5] op_sel:[0,1] op_sel_hi:[1,0]
	v_pk_add_f32 v[10:11], v[18:19], v[30:31] op_sel:[0,1] op_sel_hi:[1,0] neg_lo:[0,1] neg_hi:[0,1]
	v_pk_add_f32 v[16:17], v[16:17], v[30:31] op_sel:[0,1] op_sel_hi:[1,0]
	;; [unrolled: 2-line block ×3, first 2 shown]
	v_mov_b32_e32 v18, v16
	v_mov_b32_e32 v19, v11
	v_pk_add_f32 v[26:27], v[26:27], v[28:29]
	v_pk_add_f32 v[2:3], v[2:3], v[20:21]
	v_mov_b32_e32 v20, v6
	v_mov_b32_e32 v21, v5
	;; [unrolled: 1-line block ×4, first 2 shown]
	v_pk_fma_f32 v[6:7], v[8:9], s[8:9], v[18:19] op_sel_hi:[1,0,1]
	v_pk_fma_f32 v[16:17], v[26:27], s[8:9], v[20:21] op_sel_hi:[1,0,1]
	;; [unrolled: 1-line block ×4, first 2 shown]
	ds_write2_b64 v15, v[2:3], v[6:7] offset1:20
	ds_write2_b64 v15, v[16:17], v[4:5] offset0:40 offset1:60
	ds_write_b64 v15, v[8:9] offset:640
.LBB0_24:
	s_or_b64 exec, exec, s[6:7]
	v_or_b32_e32 v2, s3, v1
	v_cmp_gt_u32_e32 vcc, s10, v2
	s_or_b64 s[6:7], s[22:23], vcc
	s_waitcnt lgkmcnt(0)
	s_barrier
	s_and_saveexec_b64 s[8:9], s[6:7]
	s_cbranch_execz .LBB0_26
; %bb.25:
	s_mov_b32 s6, 0xa3d70a4
	v_mul_hi_u32 v2, v14, s6
	v_mul_u32_u24_e32 v2, 25, v2
	v_sub_u32_e32 v18, v14, v2
	v_mul_u32_u24_e32 v2, 3, v18
	v_lshlrev_b32_e32 v6, 3, v2
	global_load_dwordx4 v[2:5], v6, s[4:5] offset:160
	global_load_dwordx2 v[14:15], v6, s[4:5] offset:176
	s_load_dwordx2 s[0:1], s[0:1], 0x60
	s_mul_i32 s7, s13, s3
	s_mul_hi_u32 s10, s12, s3
	s_mul_i32 s4, s2, s18
	s_mul_i32 s2, s12, s3
	;; [unrolled: 1-line block ×3, first 2 shown]
	s_mul_hi_u32 s16, s20, s11
	s_add_i32 s3, s10, s7
	s_add_i32 s7, s16, s15
	s_lshl_b64 s[2:3], s[2:3], 3
	s_mov_b32 s5, 0
	s_waitcnt lgkmcnt(0)
	s_add_u32 s2, s0, s2
	s_addc_u32 s3, s1, s3
	s_lshl_b64 s[0:1], s[4:5], 3
	s_mul_i32 s6, s20, s11
	v_mad_u64_u32 v[16:17], s[8:9], s12, v1, 0
	s_add_u32 s2, s2, s0
	v_sub_u32_e32 v20, v0, v12
	v_mov_b32_e32 v0, v17
	s_addc_u32 s3, s3, s1
	s_lshl_b64 s[0:1], s[6:7], 3
	v_mad_u64_u32 v[0:1], s[8:9], s13, v1, v[0:1]
	s_add_u32 s0, s2, s0
	v_add_u32_e32 v10, 0x400, v13
	v_mov_b32_e32 v17, v0
	v_add_u32_e32 v0, v20, v18
	s_addc_u32 s1, s3, s1
	ds_read2_b64 v[6:9], v13 offset1:100
	v_mov_b32_e32 v19, 0
	s_mul_i32 s11, s14, 25
	ds_read2_b64 v[10:13], v10 offset0:72 offset1:172
	v_mul_lo_u32 v18, v0, s14
	v_lshl_add_u64 v[16:17], v[16:17], 3, s[0:1]
	v_lshl_add_u64 v[22:23], v[18:19], 3, v[16:17]
	v_add_u32_e32 v18, s11, v18
	v_lshl_add_u64 v[24:25], v[18:19], 3, v[16:17]
	v_add_u32_e32 v18, s11, v18
	;; [unrolled: 2-line block ×3, first 2 shown]
	v_lshl_add_u64 v[16:17], v[18:19], 3, v[16:17]
	s_waitcnt lgkmcnt(1)
	v_mov_b32_e32 v0, v9
	s_waitcnt lgkmcnt(0)
	v_mov_b32_e32 v20, v13
	s_waitcnt vmcnt(1)
	v_mov_b32_e32 v18, v5
	v_mov_b32_e32 v19, v4
	v_pk_mul_f32 v[28:29], v[2:3], v[8:9] op_sel_hi:[1,0]
	s_waitcnt vmcnt(0)
	v_pk_mul_f32 v[30:31], v[14:15], v[12:13] op_sel_hi:[1,0]
	v_pk_mul_f32 v[18:19], v[18:19], v[10:11] op_sel:[0,1]
	v_pk_fma_f32 v[0:1], v[2:3], v[0:1], v[28:29] op_sel:[0,0,1] op_sel_hi:[1,1,0]
	v_pk_fma_f32 v[2:3], v[2:3], v[8:9], v[28:29] op_sel:[0,1,1] op_sel_hi:[1,1,0] neg_lo:[1,0,0] neg_hi:[1,0,0]
	v_pk_fma_f32 v[8:9], v[14:15], v[20:21], v[30:31] op_sel:[0,0,1] op_sel_hi:[1,1,0]
	v_pk_fma_f32 v[12:13], v[14:15], v[12:13], v[30:31] op_sel:[0,1,1] op_sel_hi:[1,1,0] neg_lo:[1,0,0] neg_hi:[1,0,0]
	v_pk_fma_f32 v[14:15], v[4:5], v[10:11], v[18:19] neg_lo:[0,0,1] neg_hi:[0,0,1]
	v_pk_fma_f32 v[4:5], v[4:5], v[10:11], v[18:19] op_sel_hi:[1,0,1]
	v_mov_b32_e32 v1, v3
	v_mov_b32_e32 v9, v13
	;; [unrolled: 1-line block ×3, first 2 shown]
	v_pk_add_f32 v[2:3], v[0:1], v[8:9] neg_lo:[0,1] neg_hi:[0,1]
	v_pk_add_f32 v[4:5], v[6:7], v[14:15] neg_lo:[0,1] neg_hi:[0,1]
	v_pk_fma_f32 v[0:1], v[0:1], 2.0, v[2:3] op_sel_hi:[1,0,1] neg_lo:[0,0,1] neg_hi:[0,0,1]
	v_pk_fma_f32 v[6:7], v[6:7], 2.0, v[4:5] op_sel_hi:[1,0,1] neg_lo:[0,0,1] neg_hi:[0,0,1]
	v_pk_add_f32 v[8:9], v[4:5], v[2:3] neg_lo:[0,1] neg_hi:[0,1]
	v_pk_add_f32 v[2:3], v[4:5], v[2:3]
	v_pk_add_f32 v[0:1], v[6:7], v[0:1] op_sel:[0,1] op_sel_hi:[1,0] neg_lo:[0,1] neg_hi:[0,1]
	v_mov_b32_e32 v9, v3
	v_pk_fma_f32 v[2:3], v[6:7], 2.0, v[0:1] op_sel_hi:[1,0,1] neg_lo:[0,0,1] neg_hi:[0,0,1]
	v_pk_fma_f32 v[4:5], v[4:5], 2.0, v[8:9] op_sel_hi:[1,0,1] neg_lo:[0,0,1] neg_hi:[0,0,1]
	global_store_dwordx2 v[22:23], v[2:3], off
	global_store_dwordx2 v[24:25], v[4:5], off
	;; [unrolled: 1-line block ×4, first 2 shown]
.LBB0_26:
	s_endpgm
	.section	.rodata,"a",@progbits
	.p2align	6, 0x0
	.amdhsa_kernel fft_rtc_fwd_len100_factors_5_5_4_wgs_100_tpt_25_sp_op_CI_CI_sbrc_xy_z_unaligned_dirReg
		.amdhsa_group_segment_fixed_size 0
		.amdhsa_private_segment_fixed_size 0
		.amdhsa_kernarg_size 104
		.amdhsa_user_sgpr_count 2
		.amdhsa_user_sgpr_dispatch_ptr 0
		.amdhsa_user_sgpr_queue_ptr 0
		.amdhsa_user_sgpr_kernarg_segment_ptr 1
		.amdhsa_user_sgpr_dispatch_id 0
		.amdhsa_user_sgpr_kernarg_preload_length 0
		.amdhsa_user_sgpr_kernarg_preload_offset 0
		.amdhsa_user_sgpr_private_segment_size 0
		.amdhsa_uses_dynamic_stack 0
		.amdhsa_enable_private_segment 0
		.amdhsa_system_sgpr_workgroup_id_x 1
		.amdhsa_system_sgpr_workgroup_id_y 0
		.amdhsa_system_sgpr_workgroup_id_z 0
		.amdhsa_system_sgpr_workgroup_info 0
		.amdhsa_system_vgpr_workitem_id 0
		.amdhsa_next_free_vgpr 34
		.amdhsa_next_free_sgpr 38
		.amdhsa_accum_offset 36
		.amdhsa_reserve_vcc 1
		.amdhsa_float_round_mode_32 0
		.amdhsa_float_round_mode_16_64 0
		.amdhsa_float_denorm_mode_32 3
		.amdhsa_float_denorm_mode_16_64 3
		.amdhsa_dx10_clamp 1
		.amdhsa_ieee_mode 1
		.amdhsa_fp16_overflow 0
		.amdhsa_tg_split 0
		.amdhsa_exception_fp_ieee_invalid_op 0
		.amdhsa_exception_fp_denorm_src 0
		.amdhsa_exception_fp_ieee_div_zero 0
		.amdhsa_exception_fp_ieee_overflow 0
		.amdhsa_exception_fp_ieee_underflow 0
		.amdhsa_exception_fp_ieee_inexact 0
		.amdhsa_exception_int_div_zero 0
	.end_amdhsa_kernel
	.text
.Lfunc_end0:
	.size	fft_rtc_fwd_len100_factors_5_5_4_wgs_100_tpt_25_sp_op_CI_CI_sbrc_xy_z_unaligned_dirReg, .Lfunc_end0-fft_rtc_fwd_len100_factors_5_5_4_wgs_100_tpt_25_sp_op_CI_CI_sbrc_xy_z_unaligned_dirReg
                                        ; -- End function
	.section	.AMDGPU.csdata,"",@progbits
; Kernel info:
; codeLenInByte = 2796
; NumSgprs: 44
; NumVgprs: 34
; NumAgprs: 0
; TotalNumVgprs: 34
; ScratchSize: 0
; MemoryBound: 0
; FloatMode: 240
; IeeeMode: 1
; LDSByteSize: 0 bytes/workgroup (compile time only)
; SGPRBlocks: 5
; VGPRBlocks: 4
; NumSGPRsForWavesPerEU: 44
; NumVGPRsForWavesPerEU: 34
; AccumOffset: 36
; Occupancy: 8
; WaveLimiterHint : 1
; COMPUTE_PGM_RSRC2:SCRATCH_EN: 0
; COMPUTE_PGM_RSRC2:USER_SGPR: 2
; COMPUTE_PGM_RSRC2:TRAP_HANDLER: 0
; COMPUTE_PGM_RSRC2:TGID_X_EN: 1
; COMPUTE_PGM_RSRC2:TGID_Y_EN: 0
; COMPUTE_PGM_RSRC2:TGID_Z_EN: 0
; COMPUTE_PGM_RSRC2:TIDIG_COMP_CNT: 0
; COMPUTE_PGM_RSRC3_GFX90A:ACCUM_OFFSET: 8
; COMPUTE_PGM_RSRC3_GFX90A:TG_SPLIT: 0
	.text
	.p2alignl 6, 3212836864
	.fill 256, 4, 3212836864
	.type	__hip_cuid_cde1e10fac8eaf6f,@object ; @__hip_cuid_cde1e10fac8eaf6f
	.section	.bss,"aw",@nobits
	.globl	__hip_cuid_cde1e10fac8eaf6f
__hip_cuid_cde1e10fac8eaf6f:
	.byte	0                               ; 0x0
	.size	__hip_cuid_cde1e10fac8eaf6f, 1

	.ident	"AMD clang version 19.0.0git (https://github.com/RadeonOpenCompute/llvm-project roc-6.4.0 25133 c7fe45cf4b819c5991fe208aaa96edf142730f1d)"
	.section	".note.GNU-stack","",@progbits
	.addrsig
	.addrsig_sym __hip_cuid_cde1e10fac8eaf6f
	.amdgpu_metadata
---
amdhsa.kernels:
  - .agpr_count:     0
    .args:
      - .actual_access:  read_only
        .address_space:  global
        .offset:         0
        .size:           8
        .value_kind:     global_buffer
      - .offset:         8
        .size:           8
        .value_kind:     by_value
      - .actual_access:  read_only
        .address_space:  global
        .offset:         16
        .size:           8
        .value_kind:     global_buffer
      - .actual_access:  read_only
        .address_space:  global
        .offset:         24
        .size:           8
        .value_kind:     global_buffer
      - .actual_access:  read_only
        .address_space:  global
        .offset:         32
        .size:           8
        .value_kind:     global_buffer
      - .offset:         40
        .size:           8
        .value_kind:     by_value
      - .actual_access:  read_only
        .address_space:  global
        .offset:         48
        .size:           8
        .value_kind:     global_buffer
      - .actual_access:  read_only
        .address_space:  global
        .offset:         56
        .size:           8
        .value_kind:     global_buffer
      - .offset:         64
        .size:           4
        .value_kind:     by_value
      - .actual_access:  read_only
        .address_space:  global
        .offset:         72
        .size:           8
        .value_kind:     global_buffer
      - .actual_access:  read_only
        .address_space:  global
        .offset:         80
        .size:           8
        .value_kind:     global_buffer
      - .actual_access:  read_only
        .address_space:  global
        .offset:         88
        .size:           8
        .value_kind:     global_buffer
      - .actual_access:  write_only
        .address_space:  global
        .offset:         96
        .size:           8
        .value_kind:     global_buffer
    .group_segment_fixed_size: 0
    .kernarg_segment_align: 8
    .kernarg_segment_size: 104
    .language:       OpenCL C
    .language_version:
      - 2
      - 0
    .max_flat_workgroup_size: 100
    .name:           fft_rtc_fwd_len100_factors_5_5_4_wgs_100_tpt_25_sp_op_CI_CI_sbrc_xy_z_unaligned_dirReg
    .private_segment_fixed_size: 0
    .sgpr_count:     44
    .sgpr_spill_count: 0
    .symbol:         fft_rtc_fwd_len100_factors_5_5_4_wgs_100_tpt_25_sp_op_CI_CI_sbrc_xy_z_unaligned_dirReg.kd
    .uniform_work_group_size: 1
    .uses_dynamic_stack: false
    .vgpr_count:     34
    .vgpr_spill_count: 0
    .wavefront_size: 64
amdhsa.target:   amdgcn-amd-amdhsa--gfx950
amdhsa.version:
  - 1
  - 2
...

	.end_amdgpu_metadata
